;; amdgpu-corpus repo=ROCm/rocFFT kind=compiled arch=gfx1030 opt=O3
	.text
	.amdgcn_target "amdgcn-amd-amdhsa--gfx1030"
	.amdhsa_code_object_version 6
	.protected	fft_rtc_fwd_len156_factors_3_4_13_wgs_117_tpt_13_dp_op_CI_CI_unitstride_sbrr_C2R_dirReg ; -- Begin function fft_rtc_fwd_len156_factors_3_4_13_wgs_117_tpt_13_dp_op_CI_CI_unitstride_sbrr_C2R_dirReg
	.globl	fft_rtc_fwd_len156_factors_3_4_13_wgs_117_tpt_13_dp_op_CI_CI_unitstride_sbrr_C2R_dirReg
	.p2align	8
	.type	fft_rtc_fwd_len156_factors_3_4_13_wgs_117_tpt_13_dp_op_CI_CI_unitstride_sbrr_C2R_dirReg,@function
fft_rtc_fwd_len156_factors_3_4_13_wgs_117_tpt_13_dp_op_CI_CI_unitstride_sbrr_C2R_dirReg: ; @fft_rtc_fwd_len156_factors_3_4_13_wgs_117_tpt_13_dp_op_CI_CI_unitstride_sbrr_C2R_dirReg
; %bb.0:
	s_load_dwordx4 s[12:15], s[4:5], 0x0
	v_mul_u32_u24_e32 v1, 0x13b2, v0
	s_clause 0x1
	s_load_dwordx4 s[8:11], s[4:5], 0x58
	s_load_dwordx4 s[16:19], s[4:5], 0x18
	v_mov_b32_e32 v5, 0
	v_lshrrev_b32_e32 v3, 16, v1
	v_mov_b32_e32 v1, 0
	v_mov_b32_e32 v2, 0
	v_mad_u64_u32 v[3:4], null, s6, 9, v[3:4]
	v_mov_b32_e32 v4, v5
	v_mov_b32_e32 v53, v2
	;; [unrolled: 1-line block ×5, first 2 shown]
	s_waitcnt lgkmcnt(0)
	v_cmp_lt_u64_e64 s0, s[14:15], 2
	s_and_b32 vcc_lo, exec_lo, s0
	s_cbranch_vccnz .LBB0_8
; %bb.1:
	s_load_dwordx2 s[0:1], s[4:5], 0x10
	v_mov_b32_e32 v1, 0
	v_mov_b32_e32 v2, 0
	s_add_u32 s2, s18, 8
	v_mov_b32_e32 v8, v4
	s_addc_u32 s3, s19, 0
	v_mov_b32_e32 v7, v3
	v_mov_b32_e32 v53, v2
	s_add_u32 s6, s16, 8
	v_mov_b32_e32 v52, v1
	s_addc_u32 s7, s17, 0
	s_mov_b64 s[22:23], 1
	s_waitcnt lgkmcnt(0)
	s_add_u32 s20, s0, 8
	s_addc_u32 s21, s1, 0
.LBB0_2:                                ; =>This Inner Loop Header: Depth=1
	s_load_dwordx2 s[24:25], s[20:21], 0x0
                                        ; implicit-def: $vgpr56_vgpr57
	s_mov_b32 s0, exec_lo
	s_waitcnt lgkmcnt(0)
	v_or_b32_e32 v6, s25, v8
	v_cmpx_ne_u64_e32 0, v[5:6]
	s_xor_b32 s1, exec_lo, s0
	s_cbranch_execz .LBB0_4
; %bb.3:                                ;   in Loop: Header=BB0_2 Depth=1
	v_cvt_f32_u32_e32 v4, s24
	v_cvt_f32_u32_e32 v6, s25
	s_sub_u32 s0, 0, s24
	s_subb_u32 s26, 0, s25
	v_fmac_f32_e32 v4, 0x4f800000, v6
	v_rcp_f32_e32 v4, v4
	v_mul_f32_e32 v4, 0x5f7ffffc, v4
	v_mul_f32_e32 v6, 0x2f800000, v4
	v_trunc_f32_e32 v6, v6
	v_fmac_f32_e32 v4, 0xcf800000, v6
	v_cvt_u32_f32_e32 v6, v6
	v_cvt_u32_f32_e32 v4, v4
	v_mul_lo_u32 v9, s0, v6
	v_mul_hi_u32 v10, s0, v4
	v_mul_lo_u32 v11, s26, v4
	v_add_nc_u32_e32 v9, v10, v9
	v_mul_lo_u32 v10, s0, v4
	v_add_nc_u32_e32 v9, v9, v11
	v_mul_hi_u32 v11, v4, v10
	v_mul_lo_u32 v12, v4, v9
	v_mul_hi_u32 v13, v4, v9
	v_mul_hi_u32 v14, v6, v10
	v_mul_lo_u32 v10, v6, v10
	v_mul_hi_u32 v15, v6, v9
	v_mul_lo_u32 v9, v6, v9
	v_add_co_u32 v11, vcc_lo, v11, v12
	v_add_co_ci_u32_e32 v12, vcc_lo, 0, v13, vcc_lo
	v_add_co_u32 v10, vcc_lo, v11, v10
	v_add_co_ci_u32_e32 v10, vcc_lo, v12, v14, vcc_lo
	v_add_co_ci_u32_e32 v11, vcc_lo, 0, v15, vcc_lo
	v_add_co_u32 v9, vcc_lo, v10, v9
	v_add_co_ci_u32_e32 v10, vcc_lo, 0, v11, vcc_lo
	v_add_co_u32 v4, vcc_lo, v4, v9
	v_add_co_ci_u32_e32 v6, vcc_lo, v6, v10, vcc_lo
	v_mul_hi_u32 v9, s0, v4
	v_mul_lo_u32 v11, s26, v4
	v_mul_lo_u32 v10, s0, v6
	v_add_nc_u32_e32 v9, v9, v10
	v_mul_lo_u32 v10, s0, v4
	v_add_nc_u32_e32 v9, v9, v11
	v_mul_hi_u32 v11, v4, v10
	v_mul_lo_u32 v12, v4, v9
	v_mul_hi_u32 v13, v4, v9
	v_mul_hi_u32 v14, v6, v10
	v_mul_lo_u32 v10, v6, v10
	v_mul_hi_u32 v15, v6, v9
	v_mul_lo_u32 v9, v6, v9
	v_add_co_u32 v11, vcc_lo, v11, v12
	v_add_co_ci_u32_e32 v12, vcc_lo, 0, v13, vcc_lo
	v_add_co_u32 v10, vcc_lo, v11, v10
	v_add_co_ci_u32_e32 v10, vcc_lo, v12, v14, vcc_lo
	v_add_co_ci_u32_e32 v11, vcc_lo, 0, v15, vcc_lo
	v_add_co_u32 v9, vcc_lo, v10, v9
	v_add_co_ci_u32_e32 v10, vcc_lo, 0, v11, vcc_lo
	v_add_co_u32 v4, vcc_lo, v4, v9
	v_add_co_ci_u32_e32 v6, vcc_lo, v6, v10, vcc_lo
	v_mul_hi_u32 v15, v7, v4
	v_mad_u64_u32 v[11:12], null, v8, v4, 0
	v_mad_u64_u32 v[9:10], null, v7, v6, 0
	;; [unrolled: 1-line block ×3, first 2 shown]
	v_add_co_u32 v4, vcc_lo, v15, v9
	v_add_co_ci_u32_e32 v6, vcc_lo, 0, v10, vcc_lo
	v_add_co_u32 v4, vcc_lo, v4, v11
	v_add_co_ci_u32_e32 v4, vcc_lo, v6, v12, vcc_lo
	v_add_co_ci_u32_e32 v6, vcc_lo, 0, v14, vcc_lo
	v_add_co_u32 v4, vcc_lo, v4, v13
	v_add_co_ci_u32_e32 v6, vcc_lo, 0, v6, vcc_lo
	v_mul_lo_u32 v11, s25, v4
	v_mad_u64_u32 v[9:10], null, s24, v4, 0
	v_mul_lo_u32 v12, s24, v6
	v_sub_co_u32 v9, vcc_lo, v7, v9
	v_add3_u32 v10, v10, v12, v11
	v_sub_nc_u32_e32 v11, v8, v10
	v_subrev_co_ci_u32_e64 v11, s0, s25, v11, vcc_lo
	v_add_co_u32 v12, s0, v4, 2
	v_add_co_ci_u32_e64 v13, s0, 0, v6, s0
	v_sub_co_u32 v14, s0, v9, s24
	v_sub_co_ci_u32_e32 v10, vcc_lo, v8, v10, vcc_lo
	v_subrev_co_ci_u32_e64 v11, s0, 0, v11, s0
	v_cmp_le_u32_e32 vcc_lo, s24, v14
	v_cmp_eq_u32_e64 s0, s25, v10
	v_cndmask_b32_e64 v14, 0, -1, vcc_lo
	v_cmp_le_u32_e32 vcc_lo, s25, v11
	v_cndmask_b32_e64 v15, 0, -1, vcc_lo
	v_cmp_le_u32_e32 vcc_lo, s24, v9
	;; [unrolled: 2-line block ×3, first 2 shown]
	v_cndmask_b32_e64 v16, 0, -1, vcc_lo
	v_cmp_eq_u32_e32 vcc_lo, s25, v11
	v_cndmask_b32_e64 v9, v16, v9, s0
	v_cndmask_b32_e32 v11, v15, v14, vcc_lo
	v_add_co_u32 v14, vcc_lo, v4, 1
	v_add_co_ci_u32_e32 v15, vcc_lo, 0, v6, vcc_lo
	v_cmp_ne_u32_e32 vcc_lo, 0, v11
	v_cndmask_b32_e32 v10, v15, v13, vcc_lo
	v_cndmask_b32_e32 v11, v14, v12, vcc_lo
	v_cmp_ne_u32_e32 vcc_lo, 0, v9
	v_cndmask_b32_e32 v57, v6, v10, vcc_lo
	v_cndmask_b32_e32 v56, v4, v11, vcc_lo
.LBB0_4:                                ;   in Loop: Header=BB0_2 Depth=1
	s_andn2_saveexec_b32 s0, s1
	s_cbranch_execz .LBB0_6
; %bb.5:                                ;   in Loop: Header=BB0_2 Depth=1
	v_cvt_f32_u32_e32 v4, s24
	s_sub_i32 s1, 0, s24
	v_mov_b32_e32 v57, v5
	v_rcp_iflag_f32_e32 v4, v4
	v_mul_f32_e32 v4, 0x4f7ffffe, v4
	v_cvt_u32_f32_e32 v4, v4
	v_mul_lo_u32 v6, s1, v4
	v_mul_hi_u32 v6, v4, v6
	v_add_nc_u32_e32 v4, v4, v6
	v_mul_hi_u32 v4, v7, v4
	v_mul_lo_u32 v6, v4, s24
	v_add_nc_u32_e32 v9, 1, v4
	v_sub_nc_u32_e32 v6, v7, v6
	v_subrev_nc_u32_e32 v10, s24, v6
	v_cmp_le_u32_e32 vcc_lo, s24, v6
	v_cndmask_b32_e32 v6, v6, v10, vcc_lo
	v_cndmask_b32_e32 v4, v4, v9, vcc_lo
	v_cmp_le_u32_e32 vcc_lo, s24, v6
	v_add_nc_u32_e32 v9, 1, v4
	v_cndmask_b32_e32 v56, v4, v9, vcc_lo
.LBB0_6:                                ;   in Loop: Header=BB0_2 Depth=1
	s_or_b32 exec_lo, exec_lo, s0
	v_mul_lo_u32 v4, v57, s24
	v_mul_lo_u32 v6, v56, s25
	s_load_dwordx2 s[0:1], s[6:7], 0x0
	v_mad_u64_u32 v[9:10], null, v56, s24, 0
	s_load_dwordx2 s[24:25], s[2:3], 0x0
	s_add_u32 s22, s22, 1
	s_addc_u32 s23, s23, 0
	s_add_u32 s2, s2, 8
	s_addc_u32 s3, s3, 0
	s_add_u32 s6, s6, 8
	v_add3_u32 v4, v10, v6, v4
	v_sub_co_u32 v6, vcc_lo, v7, v9
	s_addc_u32 s7, s7, 0
	s_add_u32 s20, s20, 8
	v_sub_co_ci_u32_e32 v4, vcc_lo, v8, v4, vcc_lo
	s_addc_u32 s21, s21, 0
	s_waitcnt lgkmcnt(0)
	v_mul_lo_u32 v7, s0, v4
	v_mul_lo_u32 v8, s1, v6
	v_mad_u64_u32 v[1:2], null, s0, v6, v[1:2]
	v_mul_lo_u32 v4, s24, v4
	v_mul_lo_u32 v9, s25, v6
	v_mad_u64_u32 v[52:53], null, s24, v6, v[52:53]
	v_cmp_ge_u64_e64 s0, s[22:23], s[14:15]
	v_add3_u32 v2, v8, v2, v7
	v_add3_u32 v53, v9, v53, v4
	s_and_b32 vcc_lo, exec_lo, s0
	s_cbranch_vccnz .LBB0_8
; %bb.7:                                ;   in Loop: Header=BB0_2 Depth=1
	v_mov_b32_e32 v7, v56
	v_mov_b32_e32 v8, v57
	s_branch .LBB0_2
.LBB0_8:
	s_load_dwordx2 s[0:1], s[4:5], 0x28
	v_mul_hi_u32 v4, 0x38e38e39, v3
	s_lshl_b64 s[4:5], s[14:15], 3
                                        ; implicit-def: $vgpr54
	s_add_u32 s2, s18, s4
	s_addc_u32 s3, s19, s5
	v_lshrrev_b32_e32 v4, 1, v4
	v_lshl_add_u32 v5, v4, 3, v4
	v_mul_hi_u32 v4, 0x13b13b14, v0
	v_sub_nc_u32_e32 v3, v3, v5
	s_waitcnt lgkmcnt(0)
	v_cmp_gt_u64_e32 vcc_lo, s[0:1], v[56:57]
	v_cmp_le_u64_e64 s0, s[0:1], v[56:57]
	s_and_saveexec_b32 s1, s0
	s_xor_b32 s0, exec_lo, s1
; %bb.9:
	v_mul_u32_u24_e32 v1, 13, v4
                                        ; implicit-def: $vgpr4
	v_sub_nc_u32_e32 v54, v0, v1
                                        ; implicit-def: $vgpr0
                                        ; implicit-def: $vgpr1_vgpr2
; %bb.10:
	s_or_saveexec_b32 s1, s0
	s_load_dwordx2 s[2:3], s[2:3], 0x0
	v_mul_u32_u24_e32 v3, 0x9d, v3
	v_lshlrev_b32_e32 v24, 4, v3
	s_xor_b32 exec_lo, exec_lo, s1
	s_cbranch_execz .LBB0_14
; %bb.11:
	s_add_u32 s4, s16, s4
	s_addc_u32 s5, s17, s5
	v_lshlrev_b64 v[1:2], 4, v[1:2]
	s_load_dwordx2 s[4:5], s[4:5], 0x0
	s_waitcnt lgkmcnt(0)
	v_mul_lo_u32 v7, s5, v56
	v_mul_lo_u32 v8, s4, v57
	v_mad_u64_u32 v[5:6], null, s4, v56, 0
	s_mov_b32 s4, exec_lo
	v_add3_u32 v6, v6, v8, v7
	v_mul_u32_u24_e32 v7, 13, v4
	v_lshlrev_b64 v[4:5], 4, v[5:6]
	v_sub_nc_u32_e32 v54, v0, v7
	v_lshlrev_b32_e32 v51, 4, v54
	v_add_co_u32 v0, s0, s8, v4
	v_add_co_ci_u32_e64 v4, s0, s9, v5, s0
	v_add_co_u32 v0, s0, v0, v1
	v_add_co_ci_u32_e64 v1, s0, v4, v2, s0
	v_add3_u32 v2, 0, v24, v51
	v_add_co_u32 v41, s0, v0, v51
	v_add_co_ci_u32_e64 v42, s0, 0, v1, s0
	s_clause 0x5
	global_load_dwordx4 v[4:7], v[41:42], off
	global_load_dwordx4 v[8:11], v[41:42], off offset:208
	global_load_dwordx4 v[12:15], v[41:42], off offset:416
	;; [unrolled: 1-line block ×5, first 2 shown]
	v_add_co_u32 v49, s0, 0x800, v41
	v_add_co_ci_u32_e64 v50, s0, 0, v42, s0
	s_clause 0x5
	global_load_dwordx4 v[29:32], v[41:42], off offset:1248
	global_load_dwordx4 v[33:36], v[41:42], off offset:1456
	;; [unrolled: 1-line block ×6, first 2 shown]
	s_waitcnt vmcnt(11)
	ds_write_b128 v2, v[4:7]
	s_waitcnt vmcnt(10)
	ds_write_b128 v2, v[8:11] offset:208
	s_waitcnt vmcnt(9)
	ds_write_b128 v2, v[12:15] offset:416
	;; [unrolled: 2-line block ×11, first 2 shown]
	v_cmpx_eq_u32_e32 12, v54
	s_cbranch_execz .LBB0_13
; %bb.12:
	v_add_co_u32 v0, s0, 0x800, v0
	v_add_co_ci_u32_e64 v1, s0, 0, v1, s0
	v_mov_b32_e32 v54, 12
	global_load_dwordx4 v[4:7], v[0:1], off offset:448
	s_waitcnt vmcnt(0)
	ds_write_b128 v2, v[4:7] offset:2304
.LBB0_13:
	s_or_b32 exec_lo, exec_lo, s4
.LBB0_14:
	s_or_b32 exec_lo, exec_lo, s1
	v_lshl_add_u32 v188, v3, 4, 0
	v_lshlrev_b32_e32 v11, 4, v54
	s_waitcnt lgkmcnt(0)
	s_barrier
	buffer_gl0_inv
	s_add_u32 s1, s12, 0x990
	v_add_nc_u32_e32 v189, v188, v11
	v_sub_nc_u32_e32 v10, v188, v11
	s_addc_u32 s4, s13, 0
	s_mov_b32 s5, exec_lo
	ds_read_b64 v[6:7], v189
	ds_read_b64 v[8:9], v10 offset:2496
                                        ; implicit-def: $vgpr4_vgpr5
	s_waitcnt lgkmcnt(0)
	v_add_f64 v[0:1], v[6:7], v[8:9]
	v_add_f64 v[2:3], v[6:7], -v[8:9]
	v_cmpx_ne_u32_e32 0, v54
	s_xor_b32 s5, exec_lo, s5
	s_cbranch_execz .LBB0_16
; %bb.15:
	v_mov_b32_e32 v55, 0
	v_add_f64 v[14:15], v[6:7], v[8:9]
	v_add_f64 v[16:17], v[6:7], -v[8:9]
	v_lshlrev_b64 v[0:1], 4, v[54:55]
	v_add_co_u32 v0, s0, s1, v0
	v_add_co_ci_u32_e64 v1, s0, s4, v1, s0
	global_load_dwordx4 v[2:5], v[0:1], off
	ds_read_b64 v[0:1], v10 offset:2504
	ds_read_b64 v[12:13], v189 offset:8
	s_waitcnt lgkmcnt(0)
	v_add_f64 v[6:7], v[0:1], v[12:13]
	v_add_f64 v[0:1], v[12:13], -v[0:1]
	s_waitcnt vmcnt(0)
	v_fma_f64 v[8:9], v[16:17], v[4:5], v[14:15]
	v_fma_f64 v[12:13], -v[16:17], v[4:5], v[14:15]
	v_fma_f64 v[14:15], v[6:7], v[4:5], -v[0:1]
	v_fma_f64 v[4:5], v[6:7], v[4:5], v[0:1]
	v_fma_f64 v[0:1], -v[6:7], v[2:3], v[8:9]
	v_fma_f64 v[6:7], v[6:7], v[2:3], v[12:13]
	v_fma_f64 v[8:9], v[16:17], v[2:3], v[14:15]
	;; [unrolled: 1-line block ×3, first 2 shown]
	v_mov_b32_e32 v4, v54
	v_mov_b32_e32 v5, v55
	ds_write_b128 v10, v[6:9] offset:2496
.LBB0_16:
	s_andn2_saveexec_b32 s0, s5
	s_cbranch_execz .LBB0_18
; %bb.17:
	ds_read_b128 v[4:7], v188 offset:1248
	s_waitcnt lgkmcnt(0)
	v_add_f64 v[12:13], v[4:5], v[4:5]
	v_mul_f64 v[14:15], v[6:7], -2.0
	v_mov_b32_e32 v4, 0
	v_mov_b32_e32 v5, 0
	ds_write_b128 v188, v[12:15] offset:1248
.LBB0_18:
	s_or_b32 exec_lo, exec_lo, s0
	v_lshlrev_b64 v[4:5], 4, v[4:5]
	v_add3_u32 v55, 0, v11, v24
	v_add_nc_u16 v92, v54, 13
	v_add_nc_u16 v93, v54, 26
	s_mov_b32 s5, 0xbfebb67a
	v_mov_b32_e32 v94, 3
	v_add_co_u32 v29, s0, s1, v4
	v_add_co_ci_u32_e64 v30, s0, s4, v5, s0
	s_mov_b32 s0, 0xe8584caa
	s_mov_b32 s1, 0x3febb67a
	;; [unrolled: 1-line block ×3, first 2 shown]
	s_clause 0x2
	global_load_dwordx4 v[4:7], v[29:30], off offset:208
	global_load_dwordx4 v[12:15], v[29:30], off offset:416
	;; [unrolled: 1-line block ×3, first 2 shown]
	ds_write_b128 v189, v[0:3]
	ds_read_b128 v[0:3], v189 offset:208
	ds_read_b128 v[20:23], v10 offset:2288
	global_load_dwordx4 v[25:28], v[29:30], off offset:832
	s_waitcnt lgkmcnt(0)
	v_add_f64 v[8:9], v[0:1], v[20:21]
	v_add_f64 v[31:32], v[22:23], v[2:3]
	v_add_f64 v[20:21], v[0:1], -v[20:21]
	v_add_f64 v[0:1], v[2:3], -v[22:23]
	s_waitcnt vmcnt(3)
	v_fma_f64 v[2:3], v[20:21], v[6:7], v[8:9]
	v_fma_f64 v[22:23], v[31:32], v[6:7], v[0:1]
	v_fma_f64 v[8:9], -v[20:21], v[6:7], v[8:9]
	v_fma_f64 v[33:34], v[31:32], v[6:7], -v[0:1]
	v_fma_f64 v[0:1], -v[31:32], v[4:5], v[2:3]
	v_fma_f64 v[2:3], v[20:21], v[4:5], v[22:23]
	v_fma_f64 v[6:7], v[31:32], v[4:5], v[8:9]
	;; [unrolled: 1-line block ×3, first 2 shown]
	ds_write_b128 v189, v[0:3] offset:208
	ds_write_b128 v10, v[6:9] offset:2288
	ds_read_b128 v[0:3], v189 offset:416
	ds_read_b128 v[4:7], v10 offset:2080
	global_load_dwordx4 v[20:23], v[29:30], off offset:1040
	s_waitcnt lgkmcnt(0)
	v_add_f64 v[8:9], v[0:1], v[4:5]
	v_add_f64 v[29:30], v[6:7], v[2:3]
	v_add_f64 v[31:32], v[0:1], -v[4:5]
	v_add_f64 v[0:1], v[2:3], -v[6:7]
	s_waitcnt vmcnt(3)
	v_fma_f64 v[2:3], v[31:32], v[14:15], v[8:9]
	v_fma_f64 v[4:5], v[29:30], v[14:15], v[0:1]
	v_fma_f64 v[6:7], -v[31:32], v[14:15], v[8:9]
	v_fma_f64 v[8:9], v[29:30], v[14:15], -v[0:1]
	v_fma_f64 v[0:1], -v[29:30], v[12:13], v[2:3]
	v_fma_f64 v[2:3], v[31:32], v[12:13], v[4:5]
	v_fma_f64 v[4:5], v[29:30], v[12:13], v[6:7]
	;; [unrolled: 1-line block ×3, first 2 shown]
	v_and_b32_e32 v30, 0xff, v93
	ds_write_b128 v189, v[0:3] offset:416
	ds_write_b128 v10, v[4:7] offset:2080
	ds_read_b128 v[0:3], v189 offset:624
	ds_read_b128 v[4:7], v10 offset:1872
	v_mul_lo_u16 v43, 0xab, v30
	v_lshrrev_b16 v112, 9, v43
	v_mul_lo_u16 v96, v112, 3
	v_sub_nc_u16 v115, v93, v96
	s_waitcnt lgkmcnt(0)
	v_add_f64 v[8:9], v[0:1], v[4:5]
	v_add_f64 v[12:13], v[6:7], v[2:3]
	v_add_f64 v[14:15], v[0:1], -v[4:5]
	v_add_f64 v[0:1], v[2:3], -v[6:7]
	s_waitcnt vmcnt(2)
	v_fma_f64 v[2:3], v[14:15], v[18:19], v[8:9]
	v_fma_f64 v[4:5], v[12:13], v[18:19], v[0:1]
	v_fma_f64 v[6:7], -v[14:15], v[18:19], v[8:9]
	v_fma_f64 v[8:9], v[12:13], v[18:19], -v[0:1]
	v_fma_f64 v[0:1], -v[12:13], v[16:17], v[2:3]
	v_fma_f64 v[2:3], v[14:15], v[16:17], v[4:5]
	v_fma_f64 v[4:5], v[12:13], v[16:17], v[6:7]
	v_fma_f64 v[6:7], v[14:15], v[16:17], v[8:9]
	v_and_b32_e32 v17, 0xff, v92
	ds_write_b128 v189, v[0:3] offset:624
	ds_write_b128 v10, v[4:7] offset:1872
	ds_read_b128 v[0:3], v189 offset:832
	ds_read_b128 v[4:7], v10 offset:1664
	v_mul_lo_u16 v42, 0xab, v17
	v_lshrrev_b16 v111, 9, v42
	v_mul_lo_u16 v95, v111, 3
	v_sub_nc_u16 v114, v92, v95
	s_waitcnt lgkmcnt(0)
	v_add_f64 v[8:9], v[0:1], v[4:5]
	v_add_f64 v[12:13], v[6:7], v[2:3]
	v_add_f64 v[14:15], v[0:1], -v[4:5]
	v_add_f64 v[0:1], v[2:3], -v[6:7]
	s_waitcnt vmcnt(1)
	v_fma_f64 v[2:3], v[14:15], v[27:28], v[8:9]
	v_fma_f64 v[4:5], v[12:13], v[27:28], v[0:1]
	v_fma_f64 v[6:7], -v[14:15], v[27:28], v[8:9]
	v_fma_f64 v[8:9], v[12:13], v[27:28], -v[0:1]
	v_fma_f64 v[0:1], -v[12:13], v[25:26], v[2:3]
	v_fma_f64 v[2:3], v[14:15], v[25:26], v[4:5]
	v_fma_f64 v[4:5], v[12:13], v[25:26], v[6:7]
	;; [unrolled: 1-line block ×3, first 2 shown]
	v_mov_b32_e32 v25, 4
	ds_write_b128 v189, v[0:3] offset:832
	ds_write_b128 v10, v[4:7] offset:1664
	ds_read_b128 v[0:3], v189 offset:1040
	ds_read_b128 v[4:7], v10 offset:1456
	s_waitcnt lgkmcnt(0)
	v_add_f64 v[8:9], v[0:1], v[4:5]
	v_add_f64 v[12:13], v[6:7], v[2:3]
	v_add_f64 v[14:15], v[0:1], -v[4:5]
	v_add_f64 v[0:1], v[2:3], -v[6:7]
	s_waitcnt vmcnt(0)
	v_fma_f64 v[2:3], v[14:15], v[22:23], v[8:9]
	v_fma_f64 v[4:5], v[12:13], v[22:23], v[0:1]
	v_fma_f64 v[6:7], -v[14:15], v[22:23], v[8:9]
	v_fma_f64 v[8:9], v[12:13], v[22:23], -v[0:1]
	v_fma_f64 v[0:1], -v[12:13], v[20:21], v[2:3]
	v_fma_f64 v[2:3], v[14:15], v[20:21], v[4:5]
	v_fma_f64 v[4:5], v[12:13], v[20:21], v[6:7]
	;; [unrolled: 1-line block ×3, first 2 shown]
	v_and_b32_e32 v8, 0xff, v54
	ds_write_b128 v189, v[0:3] offset:1040
	ds_write_b128 v10, v[4:7] offset:1456
	v_mul_lo_u16 v16, 0xab, v8
	s_waitcnt lgkmcnt(0)
	s_barrier
	buffer_gl0_inv
	s_barrier
	buffer_gl0_inv
	ds_read_b128 v[0:3], v55 offset:1664
	ds_read_b128 v[4:7], v55 offset:832
	;; [unrolled: 1-line block ×4, first 2 shown]
	v_lshrrev_b16 v110, 9, v16
	ds_read_b128 v[16:19], v55 offset:2080
	ds_read_b128 v[20:23], v55 offset:1248
	ds_read_b128 v[26:29], v189
	ds_read_b128 v[30:33], v55 offset:1456
	ds_read_b128 v[34:37], v55 offset:2288
	;; [unrolled: 1-line block ×5, first 2 shown]
	s_waitcnt lgkmcnt(0)
	v_mul_lo_u16 v58, v110, 3
	s_barrier
	buffer_gl0_inv
	v_sub_nc_u16 v113, v54, v58
	v_mul_lo_u16 v97, v113, 3
	v_add_f64 v[50:51], v[4:5], v[0:1]
	v_add_f64 v[58:59], v[6:7], v[2:3]
	;; [unrolled: 1-line block ×14, first 2 shown]
	v_add_f64 v[80:81], v[6:7], -v[2:3]
	v_add_f64 v[82:83], v[4:5], -v[0:1]
	v_add_f64 v[88:89], v[46:47], v[30:31]
	v_add_f64 v[90:91], v[48:49], v[32:33]
	v_add_f64 v[32:33], v[32:33], -v[36:37]
	v_add_f64 v[30:31], v[30:31], -v[34:35]
	v_fma_f64 v[26:27], v[50:51], -0.5, v[26:27]
	v_fma_f64 v[28:29], v[58:59], -0.5, v[28:29]
	v_add_f64 v[50:51], v[10:11], -v[14:15]
	v_add_f64 v[58:59], v[8:9], -v[12:13]
	v_fma_f64 v[38:39], v[60:61], -0.5, v[38:39]
	v_fma_f64 v[40:41], v[62:63], -0.5, v[40:41]
	;; [unrolled: 4-line block ×3, first 2 shown]
	v_fma_f64 v[46:47], v[72:73], -0.5, v[46:47]
	v_fma_f64 v[48:49], v[76:77], -0.5, v[48:49]
	v_add_f64 v[0:1], v[66:67], v[0:1]
	v_add_f64 v[2:3], v[70:71], v[2:3]
	;; [unrolled: 1-line block ×8, first 2 shown]
	v_fma_f64 v[12:13], v[80:81], s[0:1], v[26:27]
	v_fma_f64 v[14:15], v[82:83], s[4:5], v[28:29]
	;; [unrolled: 1-line block ×16, first 2 shown]
	v_lshl_add_u32 v48, v54, 5, v55
	v_mul_lo_u16 v58, v114, 3
	v_mul_u32_u24_sdwa v59, v115, v94 dst_sel:DWORD dst_unused:UNUSED_PAD src0_sel:BYTE_0 src1_sel:DWORD
	v_lshlrev_b32_sdwa v49, v25, v97 dst_sel:DWORD dst_unused:UNUSED_PAD src0_sel:DWORD src1_sel:BYTE_0
	ds_write_b128 v48, v[0:3]
	ds_write_b128 v48, v[4:7] offset:624
	ds_write_b128 v48, v[8:11] offset:1248
	;; [unrolled: 1-line block ×6, first 2 shown]
	ds_write2_b64 v48, v[38:39], v[42:43] offset0:158 offset1:159
	ds_write2_b64 v48, v[40:41], v[44:45] offset0:160 offset1:161
	;; [unrolled: 1-line block ×5, first 2 shown]
	v_lshlrev_b32_sdwa v20, v25, v58 dst_sel:DWORD dst_unused:UNUSED_PAD src0_sel:DWORD src1_sel:BYTE_0
	v_lshlrev_b32_e32 v34, 4, v59
	s_waitcnt lgkmcnt(0)
	s_barrier
	buffer_gl0_inv
	s_clause 0x8
	global_load_dwordx4 v[0:3], v49, s[12:13]
	global_load_dwordx4 v[4:7], v49, s[12:13] offset:16
	global_load_dwordx4 v[8:11], v49, s[12:13] offset:32
	global_load_dwordx4 v[12:15], v20, s[12:13]
	global_load_dwordx4 v[16:19], v20, s[12:13] offset:16
	global_load_dwordx4 v[20:23], v20, s[12:13] offset:32
	global_load_dwordx4 v[26:29], v34, s[12:13]
	global_load_dwordx4 v[30:33], v34, s[12:13] offset:16
	global_load_dwordx4 v[34:37], v34, s[12:13] offset:32
	ds_read_b128 v[38:41], v55 offset:624
	ds_read_b128 v[42:45], v55 offset:1248
	;; [unrolled: 1-line block ×10, first 2 shown]
	ds_read_b128 v[86:89], v189
	ds_read_b128 v[90:93], v55 offset:208
	v_cmp_gt_u32_e64 s0, 12, v54
	s_waitcnt vmcnt(0) lgkmcnt(0)
	s_barrier
	buffer_gl0_inv
	v_mul_f64 v[100:101], v[64:65], v[18:19]
	v_mul_f64 v[94:95], v[44:45], v[6:7]
	v_mul_f64 v[50:51], v[40:41], v[2:3]
	v_mul_f64 v[2:3], v[38:39], v[2:3]
	v_mul_f64 v[6:7], v[42:43], v[6:7]
	v_mul_f64 v[96:97], v[48:49], v[10:11]
	v_mul_f64 v[10:11], v[46:47], v[10:11]
	v_mul_f64 v[98:99], v[60:61], v[14:15]
	v_mul_f64 v[14:15], v[58:59], v[14:15]
	v_mul_f64 v[18:19], v[62:63], v[18:19]
	v_mul_f64 v[102:103], v[68:69], v[22:23]
	v_mul_f64 v[22:23], v[66:67], v[22:23]
	v_mul_f64 v[104:105], v[72:73], v[28:29]
	v_mul_f64 v[28:29], v[70:71], v[28:29]
	v_mul_f64 v[106:107], v[76:77], v[32:33]
	v_mul_f64 v[32:33], v[74:75], v[32:33]
	v_mul_f64 v[108:109], v[80:81], v[36:37]
	v_mul_f64 v[36:37], v[78:79], v[36:37]
	v_fma_f64 v[38:39], v[38:39], v[0:1], -v[50:51]
	v_fma_f64 v[0:1], v[40:41], v[0:1], v[2:3]
	v_fma_f64 v[2:3], v[42:43], v[4:5], -v[94:95]
	v_fma_f64 v[4:5], v[44:45], v[4:5], v[6:7]
	;; [unrolled: 2-line block ×9, first 2 shown]
	v_mov_b32_e32 v68, 12
	v_add_f64 v[2:3], v[86:87], -v[2:3]
	v_add_f64 v[44:45], v[88:89], -v[4:5]
	;; [unrolled: 1-line block ×12, first 2 shown]
	v_fma_f64 v[30:31], v[86:87], 2.0, -v[2:3]
	v_fma_f64 v[34:35], v[88:89], 2.0, -v[44:45]
	v_fma_f64 v[32:33], v[38:39], 2.0, -v[4:5]
	v_fma_f64 v[0:1], v[0:1], 2.0, -v[6:7]
	v_add_f64 v[16:17], v[2:3], -v[6:7]
	v_add_f64 v[18:19], v[44:45], v[4:5]
	v_fma_f64 v[60:61], v[90:91], 2.0, -v[46:47]
	v_fma_f64 v[62:63], v[92:93], 2.0, -v[48:49]
	v_fma_f64 v[36:37], v[10:11], 2.0, -v[14:15]
	v_fma_f64 v[12:13], v[12:13], 2.0, -v[8:9]
	v_add_f64 v[40:41], v[46:47], -v[8:9]
	v_add_f64 v[42:43], v[48:49], v[14:15]
	;; [unrolled: 6-line block ×3, first 2 shown]
	v_add_f64 v[8:9], v[30:31], -v[32:33]
	v_add_f64 v[10:11], v[34:35], -v[0:1]
	v_mul_lo_u16 v0, v110, 12
	v_mul_lo_u16 v1, v111, 12
	v_fma_f64 v[14:15], v[44:45], 2.0, -v[18:19]
	v_add_f64 v[36:37], v[60:61], -v[36:37]
	v_add_f64 v[38:39], v[62:63], -v[12:13]
	v_mul_u32_u24_sdwa v12, v112, v68 dst_sel:DWORD dst_unused:UNUSED_PAD src0_sel:WORD_0 src1_sel:DWORD
	v_fma_f64 v[32:33], v[46:47], 2.0, -v[40:41]
	v_add_f64 v[20:21], v[64:65], -v[22:23]
	v_add_f64 v[22:23], v[66:67], -v[26:27]
	v_or_b32_e32 v26, v0, v113
	v_or_b32_e32 v27, v1, v114
	v_or_b32_sdwa v68, v12, v115 dst_sel:DWORD dst_unused:UNUSED_PAD src0_sel:DWORD src1_sel:BYTE_0
	v_fma_f64 v[12:13], v[2:3], 2.0, -v[16:17]
	v_fma_f64 v[44:45], v[50:51], 2.0, -v[4:5]
	;; [unrolled: 1-line block ×3, first 2 shown]
	v_lshlrev_b32_sdwa v26, v25, v26 dst_sel:DWORD dst_unused:UNUSED_PAD src0_sel:DWORD src1_sel:BYTE_0
	v_lshlrev_b32_sdwa v25, v25, v27 dst_sel:DWORD dst_unused:UNUSED_PAD src0_sel:DWORD src1_sel:BYTE_0
	v_fma_f64 v[0:1], v[30:31], 2.0, -v[8:9]
	v_fma_f64 v[2:3], v[34:35], 2.0, -v[10:11]
	;; [unrolled: 1-line block ×3, first 2 shown]
	v_lshlrev_b32_e32 v27, 4, v68
	v_add3_u32 v26, 0, v26, v24
	v_add3_u32 v25, 0, v25, v24
	v_fma_f64 v[28:29], v[60:61], 2.0, -v[36:37]
	v_fma_f64 v[30:31], v[62:63], 2.0, -v[38:39]
	v_add3_u32 v24, 0, v27, v24
	v_fma_f64 v[48:49], v[64:65], 2.0, -v[20:21]
	v_fma_f64 v[50:51], v[66:67], 2.0, -v[22:23]
	ds_write_b128 v26, v[16:19] offset:144
	ds_write_b128 v26, v[12:15] offset:48
	;; [unrolled: 1-line block ×3, first 2 shown]
	ds_write_b128 v26, v[0:3]
	ds_write_b128 v25, v[28:31]
	ds_write_b128 v25, v[32:35] offset:48
	ds_write_b128 v25, v[36:39] offset:96
	;; [unrolled: 1-line block ×3, first 2 shown]
	ds_write_b128 v24, v[48:51]
	ds_write_b128 v24, v[44:47] offset:48
	ds_write_b128 v24, v[20:23] offset:96
	;; [unrolled: 1-line block ×3, first 2 shown]
	s_waitcnt lgkmcnt(0)
	s_barrier
	buffer_gl0_inv
                                        ; implicit-def: $vgpr26_vgpr27
	s_and_saveexec_b32 s1, s0
	s_cbranch_execz .LBB0_20
; %bb.19:
	ds_read_b128 v[0:3], v189
	ds_read_b128 v[12:15], v55 offset:192
	ds_read_b128 v[8:11], v55 offset:384
	;; [unrolled: 1-line block ×12, first 2 shown]
.LBB0_20:
	s_or_b32 exec_lo, exec_lo, s1
	s_waitcnt lgkmcnt(0)
	s_barrier
	buffer_gl0_inv
	s_and_saveexec_b32 s33, s0
	s_cbranch_execz .LBB0_22
; %bb.21:
	v_add_nc_u32_e32 v58, -12, v54
	v_mov_b32_e32 v59, 0
	s_mov_b32 s8, 0xebaa3ed8
	s_mov_b32 s18, 0x1ea71119
	s_mov_b32 s4, 0xd0032e0c
	v_cndmask_b32_e64 v58, v58, v54, s0
	s_mov_b32 s22, 0xe00740e9
	s_mov_b32 s6, 0x93053d00
	;; [unrolled: 1-line block ×4, first 2 shown]
	v_mul_i32_i24_e32 v58, 12, v58
	s_mov_b32 s5, 0xbfe7f3cc
	s_mov_b32 s23, 0x3fec55a7
	;; [unrolled: 1-line block ×4, first 2 shown]
	v_lshlrev_b64 v[58:59], 4, v[58:59]
	s_mov_b32 s26, 0x42a4c3d2
	s_mov_b32 s14, 0x24c2f84
	s_mov_b32 s24, 0x4267c47c
	s_mov_b32 s16, 0x4bc48dbf
	s_mov_b32 s21, 0xbfefc445
	v_add_co_u32 v74, s0, s12, v58
	v_add_co_ci_u32_e64 v75, s0, s13, v59, s0
	s_mov_b32 s0, 0xb2365da1
	s_mov_b32 s1, 0xbfd6b1d8
	;; [unrolled: 1-line block ×3, first 2 shown]
	s_clause 0x1
	global_load_dwordx4 v[60:63], v[74:75], off offset:224
	global_load_dwordx4 v[64:67], v[74:75], off offset:208
	s_mov_b32 s13, 0x3fedeba7
	s_mov_b32 s27, 0xbfea55e2
	;; [unrolled: 1-line block ×17, first 2 shown]
	s_waitcnt vmcnt(1)
	v_mul_f64 v[58:59], v[36:37], v[62:63]
	v_fma_f64 v[58:59], v[38:39], v[60:61], v[58:59]
	v_mul_f64 v[38:39], v[38:39], v[62:63]
	v_fma_f64 v[36:37], v[36:37], v[60:61], -v[38:39]
	s_clause 0x1
	global_load_dwordx4 v[60:63], v[74:75], off offset:240
	global_load_dwordx4 v[68:71], v[74:75], off offset:256
	s_waitcnt vmcnt(1)
	v_mul_f64 v[38:39], v[40:41], v[62:63]
	v_fma_f64 v[38:39], v[42:43], v[60:61], v[38:39]
	v_mul_f64 v[42:43], v[42:43], v[62:63]
	v_add_f64 v[190:191], v[58:59], v[38:39]
	v_fma_f64 v[40:41], v[40:41], v[60:61], -v[42:43]
	v_mul_f64 v[42:43], v[32:33], v[66:67]
	v_add_f64 v[192:193], v[58:59], -v[38:39]
	v_mul_f64 v[134:135], v[190:191], s[8:9]
	v_add_f64 v[116:117], v[36:37], v[40:41]
	v_fma_f64 v[42:43], v[34:35], v[64:65], v[42:43]
	v_mul_f64 v[34:35], v[34:35], v[66:67]
	v_mul_f64 v[136:137], v[192:193], s[28:29]
	;; [unrolled: 1-line block ×6, first 2 shown]
	v_fma_f64 v[34:35], v[32:33], v[64:65], -v[34:35]
	s_waitcnt vmcnt(0)
	v_mul_f64 v[32:33], v[48:49], v[70:71]
	v_fma_f64 v[32:33], v[50:51], v[68:69], v[32:33]
	v_mul_f64 v[50:51], v[50:51], v[70:71]
	v_add_f64 v[184:185], v[42:43], v[32:33]
	v_fma_f64 v[48:49], v[48:49], v[68:69], -v[50:51]
	s_clause 0x1
	global_load_dwordx4 v[62:65], v[74:75], off offset:192
	global_load_dwordx4 v[66:69], v[74:75], off offset:176
	v_add_f64 v[186:187], v[42:43], -v[32:33]
	v_mul_f64 v[206:207], v[184:185], s[6:7]
	v_mul_f64 v[140:141], v[184:185], s[18:19]
	;; [unrolled: 1-line block ×5, first 2 shown]
	s_waitcnt vmcnt(1)
	v_mul_f64 v[50:51], v[28:29], v[64:65]
	v_fma_f64 v[60:61], v[30:31], v[62:63], v[50:51]
	v_mul_f64 v[30:31], v[30:31], v[64:65]
	v_fma_f64 v[62:63], v[28:29], v[62:63], -v[30:31]
	s_clause 0x1
	global_load_dwordx4 v[28:31], v[74:75], off offset:272
	global_load_dwordx4 v[70:73], v[74:75], off offset:288
	s_waitcnt vmcnt(1)
	v_mul_f64 v[50:51], v[44:45], v[30:31]
	v_mul_f64 v[30:31], v[46:47], v[30:31]
	v_fma_f64 v[50:51], v[46:47], v[28:29], v[50:51]
	v_fma_f64 v[44:45], v[44:45], v[28:29], -v[30:31]
	v_mul_f64 v[28:29], v[16:17], v[68:69]
	v_add_f64 v[180:181], v[60:61], v[50:51]
	v_add_f64 v[182:183], v[60:61], -v[50:51]
	v_fma_f64 v[46:47], v[18:19], v[66:67], v[28:29]
	v_mul_f64 v[18:19], v[18:19], v[68:69]
	v_mul_f64 v[202:203], v[180:181], s[8:9]
	;; [unrolled: 1-line block ×4, first 2 shown]
	v_fma_f64 v[64:65], v[16:17], v[66:67], -v[18:19]
	s_waitcnt vmcnt(0)
	v_mul_f64 v[16:17], v[20:21], v[72:73]
	v_mul_f64 v[156:157], v[180:181], s[4:5]
	;; [unrolled: 1-line block ×3, first 2 shown]
	v_fma_f64 v[66:67], v[22:23], v[70:71], v[16:17]
	v_mul_f64 v[16:17], v[22:23], v[72:73]
	v_add_f64 v[176:177], v[46:47], v[66:67]
	v_fma_f64 v[68:69], v[20:21], v[70:71], -v[16:17]
	s_clause 0x1
	global_load_dwordx4 v[18:21], v[74:75], off offset:144
	global_load_dwordx4 v[28:31], v[74:75], off offset:160
	v_add_f64 v[178:179], v[46:47], -v[66:67]
	v_mul_f64 v[198:199], v[176:177], s[22:23]
	v_mul_f64 v[200:201], v[178:179], s[40:41]
	;; [unrolled: 1-line block ×3, first 2 shown]
	s_waitcnt vmcnt(1)
	v_mul_f64 v[16:17], v[12:13], v[20:21]
	v_fma_f64 v[16:17], v[14:15], v[18:19], v[16:17]
	v_mul_f64 v[14:15], v[14:15], v[20:21]
	v_fma_f64 v[12:13], v[12:13], v[18:19], -v[14:15]
	s_clause 0x1
	global_load_dwordx4 v[18:21], v[74:75], off offset:320
	global_load_dwordx4 v[80:83], v[74:75], off offset:304
	s_waitcnt vmcnt(1)
	v_mul_f64 v[14:15], v[24:25], v[20:21]
	v_fma_f64 v[70:71], v[26:27], v[18:19], v[14:15]
	v_mul_f64 v[14:15], v[26:27], v[20:21]
	v_fma_f64 v[72:73], v[24:25], v[18:19], -v[14:15]
	v_mul_f64 v[14:15], v[8:9], v[30:31]
	v_add_f64 v[20:21], v[12:13], -v[72:73]
	v_fma_f64 v[74:75], v[10:11], v[28:29], v[14:15]
	v_mul_f64 v[10:11], v[10:11], v[30:31]
	v_add_f64 v[94:95], v[12:13], v[72:73]
	v_fma_f64 v[76:77], v[8:9], v[28:29], -v[10:11]
	s_waitcnt vmcnt(0)
	v_mul_f64 v[8:9], v[4:5], v[82:83]
	v_fma_f64 v[78:79], v[6:7], v[80:81], v[8:9]
	v_mul_f64 v[6:7], v[6:7], v[82:83]
	v_add_f64 v[164:165], v[74:75], v[78:79]
	v_fma_f64 v[80:81], v[4:5], v[80:81], -v[6:7]
	v_add_f64 v[4:5], v[16:17], v[70:71]
	v_add_f64 v[174:175], v[74:75], -v[78:79]
	v_mul_f64 v[194:195], v[164:165], s[4:5]
	v_mul_f64 v[148:149], v[164:165], s[0:1]
	;; [unrolled: 1-line block ×10, first 2 shown]
	v_fma_f64 v[22:23], v[20:21], s[16:17], v[6:7]
	v_fma_f64 v[6:7], v[20:21], s[38:39], v[6:7]
	;; [unrolled: 1-line block ×12, first 2 shown]
	v_add_f64 v[20:21], v[16:17], -v[70:71]
	v_add_f64 v[6:7], v[2:3], v[6:7]
	v_add_f64 v[24:25], v[2:3], v[24:25]
	;; [unrolled: 1-line block ×5, first 2 shown]
	v_mul_f64 v[10:11], v[176:177], s[4:5]
	v_mul_f64 v[8:9], v[174:175], s[40:41]
	v_add_f64 v[82:83], v[2:3], v[82:83]
	v_add_f64 v[170:171], v[2:3], v[4:5]
	v_mul_f64 v[86:87], v[20:21], s[34:35]
	v_mul_f64 v[84:85], v[20:21], s[38:39]
	;; [unrolled: 1-line block ×7, first 2 shown]
	v_fma_f64 v[98:99], v[94:95], s[4:5], v[86:87]
	v_fma_f64 v[96:97], v[94:95], s[6:7], v[84:85]
	v_fma_f64 v[84:85], v[94:95], s[6:7], -v[84:85]
	v_fma_f64 v[100:101], v[94:95], s[4:5], -v[86:87]
	v_fma_f64 v[102:103], v[94:95], s[0:1], v[88:89]
	v_fma_f64 v[104:105], v[94:95], s[0:1], -v[88:89]
	v_fma_f64 v[106:107], v[94:95], s[8:9], v[90:91]
	;; [unrolled: 2-line block ×4, first 2 shown]
	v_fma_f64 v[20:21], v[94:95], s[22:23], -v[20:21]
	v_add_f64 v[86:87], v[2:3], v[16:17]
	v_add_f64 v[88:89], v[0:1], v[12:13]
	;; [unrolled: 1-line block ×6, first 2 shown]
	v_add_f64 v[98:99], v[76:77], -v[80:81]
	v_add_f64 v[16:17], v[0:1], v[96:97]
	v_add_f64 v[22:23], v[0:1], v[84:85]
	;; [unrolled: 1-line block ×11, first 2 shown]
	v_add_f64 v[102:103], v[64:65], -v[68:69]
	v_add_f64 v[100:101], v[76:77], v[80:81]
	v_add_f64 v[96:97], v[2:3], v[28:29]
	;; [unrolled: 1-line block ×4, first 2 shown]
	v_add_f64 v[106:107], v[62:63], -v[44:45]
	v_add_f64 v[108:109], v[62:63], v[44:45]
	v_add_f64 v[110:111], v[34:35], -v[48:49]
	v_add_f64 v[112:113], v[34:35], v[48:49]
	v_add_f64 v[74:75], v[86:87], v[74:75]
	v_fma_f64 v[0:1], v[98:99], s[24:25], v[4:5]
	v_fma_f64 v[4:5], v[98:99], s[40:41], v[4:5]
	v_add_f64 v[76:77], v[88:89], v[76:77]
	v_fma_f64 v[2:3], v[100:101], s[22:23], v[8:9]
	v_add_f64 v[46:47], v[74:75], v[46:47]
	v_add_f64 v[0:1], v[0:1], v[12:13]
	v_fma_f64 v[12:13], v[102:103], s[14:15], v[10:11]
	v_add_f64 v[4:5], v[4:5], v[6:7]
	v_fma_f64 v[6:7], v[100:101], s[22:23], -v[8:9]
	v_fma_f64 v[8:9], v[102:103], s[34:35], v[10:11]
	v_fma_f64 v[10:11], v[116:117], s[8:9], -v[136:137]
	v_add_f64 v[64:65], v[76:77], v[64:65]
	v_add_f64 v[2:3], v[2:3], v[16:17]
	;; [unrolled: 1-line block ×4, first 2 shown]
	v_mul_f64 v[12:13], v[178:179], s[34:35]
	v_add_f64 v[6:7], v[6:7], v[22:23]
	v_add_f64 v[4:5], v[8:9], v[4:5]
	;; [unrolled: 1-line block ×4, first 2 shown]
	v_fma_f64 v[14:15], v[104:105], s[4:5], v[12:13]
	v_fma_f64 v[8:9], v[104:105], s[4:5], -v[12:13]
	v_mul_f64 v[12:13], v[164:165], s[8:9]
	v_add_f64 v[34:35], v[60:61], v[34:35]
	v_add_f64 v[42:43], v[42:43], v[58:59]
	;; [unrolled: 1-line block ×3, first 2 shown]
	v_mul_f64 v[14:15], v[180:181], s[18:19]
	v_add_f64 v[6:7], v[8:9], v[6:7]
	v_add_f64 v[34:35], v[34:35], v[36:37]
	v_fma_f64 v[16:17], v[106:107], s[26:27], v[14:15]
	v_fma_f64 v[8:9], v[106:107], s[30:31], v[14:15]
	v_mul_f64 v[14:15], v[174:175], s[28:29]
	v_add_f64 v[34:35], v[34:35], v[40:41]
	v_add_f64 v[0:1], v[16:17], v[0:1]
	v_mul_f64 v[16:17], v[182:183], s[30:31]
	v_add_f64 v[4:5], v[8:9], v[4:5]
	v_add_f64 v[34:35], v[34:35], v[48:49]
	v_fma_f64 v[18:19], v[108:109], s[18:19], v[16:17]
	v_fma_f64 v[8:9], v[108:109], s[18:19], -v[16:17]
	v_mul_f64 v[16:17], v[176:177], s[18:19]
	v_add_f64 v[34:35], v[34:35], v[44:45]
	v_add_f64 v[2:3], v[18:19], v[2:3]
	v_mul_f64 v[18:19], v[184:185], s[0:1]
	v_add_f64 v[6:7], v[8:9], v[6:7]
	v_add_f64 v[34:35], v[34:35], v[68:69]
	v_fma_f64 v[20:21], v[110:111], s[12:13], v[18:19]
	v_fma_f64 v[8:9], v[110:111], s[36:37], v[18:19]
	;; [unrolled: 1-line block ×4, first 2 shown]
	v_add_f64 v[0:1], v[20:21], v[0:1]
	v_mul_f64 v[20:21], v[186:187], s[36:37]
	v_add_f64 v[4:5], v[8:9], v[4:5]
	v_fma_f64 v[114:115], v[112:113], s[0:1], v[20:21]
	v_fma_f64 v[8:9], v[112:113], s[0:1], -v[20:21]
	v_add_f64 v[132:133], v[114:115], v[2:3]
	v_add_f64 v[114:115], v[36:37], -v[40:41]
	v_add_f64 v[8:9], v[8:9], v[6:7]
	v_add_f64 v[36:37], v[42:43], v[38:39]
	v_fma_f64 v[6:7], v[114:115], s[28:29], v[134:135]
	v_fma_f64 v[2:3], v[114:115], s[20:21], v[134:135]
	v_mul_f64 v[134:135], v[190:191], s[0:1]
	v_add_f64 v[32:33], v[36:37], v[32:33]
	v_add_f64 v[36:37], v[34:35], v[80:81]
	v_add_f64 v[6:7], v[6:7], v[4:5]
	v_add_f64 v[4:5], v[10:11], v[8:9]
	v_fma_f64 v[8:9], v[98:99], s[20:21], v[12:13]
	v_fma_f64 v[10:11], v[100:101], s[8:9], v[14:15]
	;; [unrolled: 1-line block ×3, first 2 shown]
	v_fma_f64 v[14:15], v[100:101], s[8:9], -v[14:15]
	v_add_f64 v[2:3], v[2:3], v[0:1]
	v_fma_f64 v[0:1], v[116:117], s[8:9], v[136:137]
	v_mul_f64 v[136:137], v[192:193], s[36:37]
	v_add_f64 v[32:33], v[32:33], v[50:51]
	v_add_f64 v[8:9], v[8:9], v[24:25]
	;; [unrolled: 1-line block ×5, first 2 shown]
	v_mul_f64 v[126:127], v[186:187], s[16:17]
	v_add_f64 v[0:1], v[0:1], v[132:133]
	v_mul_f64 v[124:125], v[174:175], s[38:39]
	v_add_f64 v[32:33], v[32:33], v[66:67]
	v_add_f64 v[8:9], v[18:19], v[8:9]
	v_mul_f64 v[18:19], v[178:179], s[26:27]
	v_add_f64 v[12:13], v[16:17], v[12:13]
	v_add_f64 v[32:33], v[32:33], v[78:79]
	v_fma_f64 v[20:21], v[104:105], s[18:19], v[18:19]
	v_fma_f64 v[16:17], v[104:105], s[18:19], -v[18:19]
	v_fma_f64 v[18:19], v[116:117], s[0:1], -v[136:137]
	v_add_f64 v[34:35], v[32:33], v[70:71]
	v_add_f64 v[32:33], v[36:37], v[72:73]
	;; [unrolled: 1-line block ×3, first 2 shown]
	v_mul_f64 v[20:21], v[180:181], s[6:7]
	v_add_f64 v[14:15], v[16:17], v[14:15]
	v_fma_f64 v[22:23], v[106:107], s[38:39], v[20:21]
	v_fma_f64 v[16:17], v[106:107], s[16:17], v[20:21]
	;; [unrolled: 1-line block ×3, first 2 shown]
	v_add_f64 v[8:9], v[22:23], v[8:9]
	v_mul_f64 v[22:23], v[182:183], s[16:17]
	v_add_f64 v[12:13], v[16:17], v[12:13]
	v_fma_f64 v[24:25], v[108:109], s[6:7], v[22:23]
	v_fma_f64 v[16:17], v[108:109], s[6:7], -v[22:23]
	v_fma_f64 v[22:23], v[100:101], s[6:7], -v[124:125]
	v_add_f64 v[10:11], v[24:25], v[10:11]
	v_mul_f64 v[24:25], v[184:185], s[22:23]
	v_add_f64 v[14:15], v[16:17], v[14:15]
	v_add_f64 v[22:23], v[22:23], v[130:131]
	v_mul_f64 v[130:131], v[176:177], s[0:1]
	v_fma_f64 v[122:123], v[110:111], s[24:25], v[24:25]
	v_fma_f64 v[16:17], v[110:111], s[40:41], v[24:25]
	;; [unrolled: 1-line block ×3, first 2 shown]
	v_add_f64 v[8:9], v[122:123], v[8:9]
	v_mul_f64 v[122:123], v[186:187], s[40:41]
	v_add_f64 v[12:13], v[16:17], v[12:13]
	v_mul_f64 v[186:187], v[186:187], s[34:35]
	v_fma_f64 v[16:17], v[112:113], s[22:23], -v[122:123]
	v_fma_f64 v[132:133], v[112:113], s[22:23], v[122:123]
	v_mul_f64 v[122:123], v[164:165], s[6:7]
	v_mul_f64 v[164:165], v[164:165], s[18:19]
	v_add_f64 v[16:17], v[16:17], v[14:15]
	v_fma_f64 v[14:15], v[114:115], s[36:37], v[134:135]
	v_add_f64 v[132:133], v[132:133], v[10:11]
	v_fma_f64 v[10:11], v[114:115], s[12:13], v[134:135]
	v_mul_f64 v[134:135], v[178:179], s[12:13]
	v_fma_f64 v[36:37], v[98:99], s[30:31], v[164:165]
	v_add_f64 v[14:15], v[14:15], v[12:13]
	v_add_f64 v[12:13], v[18:19], v[16:17]
	v_fma_f64 v[16:17], v[98:99], s[14:15], v[194:195]
	v_fma_f64 v[18:19], v[100:101], s[4:5], -v[196:197]
	v_add_f64 v[10:11], v[10:11], v[8:9]
	v_fma_f64 v[8:9], v[116:117], s[0:1], v[136:137]
	v_mul_f64 v[136:137], v[180:181], s[22:23]
	v_add_f64 v[36:37], v[36:37], v[82:83]
	v_add_f64 v[16:17], v[16:17], v[26:27]
	;; [unrolled: 1-line block ×3, first 2 shown]
	v_mul_f64 v[128:129], v[190:191], s[18:19]
	v_add_f64 v[8:9], v[8:9], v[132:133]
	v_mul_f64 v[132:133], v[192:193], s[30:31]
	v_fma_f64 v[26:27], v[100:101], s[0:1], -v[150:151]
	v_add_f64 v[16:17], v[20:21], v[16:17]
	v_fma_f64 v[20:21], v[104:105], s[22:23], -v[200:201]
	v_add_f64 v[26:27], v[26:27], v[152:153]
	v_mul_f64 v[152:153], v[176:177], s[6:7]
	v_add_f64 v[18:19], v[20:21], v[18:19]
	v_fma_f64 v[20:21], v[106:107], s[20:21], v[202:203]
	v_add_f64 v[16:17], v[20:21], v[16:17]
	v_fma_f64 v[20:21], v[108:109], s[8:9], -v[204:205]
	v_add_f64 v[18:19], v[20:21], v[18:19]
	v_fma_f64 v[20:21], v[110:111], s[16:17], v[206:207]
	v_add_f64 v[16:17], v[20:21], v[16:17]
	v_fma_f64 v[20:21], v[112:113], s[6:7], -v[126:127]
	v_fma_f64 v[126:127], v[112:113], s[6:7], v[126:127]
	v_add_f64 v[20:21], v[20:21], v[18:19]
	v_fma_f64 v[18:19], v[114:115], s[30:31], v[128:129]
	v_add_f64 v[18:19], v[18:19], v[16:17]
	v_fma_f64 v[16:17], v[116:117], s[18:19], -v[132:133]
	v_add_f64 v[16:17], v[16:17], v[20:21]
	v_fma_f64 v[20:21], v[98:99], s[38:39], v[122:123]
	v_fma_f64 v[122:123], v[98:99], s[16:17], v[122:123]
	v_add_f64 v[20:21], v[20:21], v[28:29]
	v_fma_f64 v[28:29], v[102:103], s[38:39], v[152:153]
	v_add_f64 v[96:97], v[122:123], v[96:97]
	v_fma_f64 v[122:123], v[100:101], s[6:7], v[124:125]
	v_fma_f64 v[124:125], v[116:117], s[4:5], v[146:147]
	v_add_f64 v[20:21], v[24:25], v[20:21]
	v_fma_f64 v[24:25], v[104:105], s[0:1], -v[134:135]
	v_add_f64 v[94:95], v[122:123], v[94:95]
	v_fma_f64 v[122:123], v[102:103], s[36:37], v[130:131]
	v_add_f64 v[22:23], v[24:25], v[22:23]
	v_fma_f64 v[24:25], v[106:107], s[40:41], v[136:137]
	v_add_f64 v[96:97], v[122:123], v[96:97]
	v_fma_f64 v[122:123], v[104:105], s[0:1], v[134:135]
	v_add_f64 v[20:21], v[24:25], v[20:21]
	v_fma_f64 v[24:25], v[108:109], s[22:23], -v[138:139]
	v_add_f64 v[94:95], v[122:123], v[94:95]
	v_fma_f64 v[122:123], v[106:107], s[24:25], v[136:137]
	v_add_f64 v[22:23], v[24:25], v[22:23]
	v_fma_f64 v[24:25], v[110:111], s[26:27], v[140:141]
	v_add_f64 v[96:97], v[122:123], v[96:97]
	;; [unrolled: 8-line block ×4, first 2 shown]
	v_add_f64 v[96:97], v[122:123], v[96:97]
	v_fma_f64 v[122:123], v[98:99], s[12:13], v[148:149]
	v_fma_f64 v[124:125], v[116:117], s[22:23], v[168:169]
	v_add_f64 v[24:25], v[24:25], v[30:31]
	v_add_f64 v[92:93], v[122:123], v[92:93]
	v_fma_f64 v[122:123], v[100:101], s[0:1], v[150:151]
	v_add_f64 v[24:25], v[28:29], v[24:25]
	v_fma_f64 v[28:29], v[104:105], s[6:7], -v[154:155]
	v_add_f64 v[90:91], v[122:123], v[90:91]
	v_fma_f64 v[122:123], v[102:103], s[16:17], v[152:153]
	v_add_f64 v[26:27], v[28:29], v[26:27]
	v_fma_f64 v[28:29], v[106:107], s[14:15], v[156:157]
	v_add_f64 v[92:93], v[122:123], v[92:93]
	v_fma_f64 v[122:123], v[104:105], s[6:7], v[154:155]
	v_add_f64 v[24:25], v[28:29], v[24:25]
	v_fma_f64 v[28:29], v[108:109], s[4:5], -v[158:159]
	v_add_f64 v[90:91], v[122:123], v[90:91]
	v_fma_f64 v[122:123], v[106:107], s[34:35], v[156:157]
	v_add_f64 v[26:27], v[28:29], v[26:27]
	v_fma_f64 v[28:29], v[110:111], s[28:29], v[160:161]
	;; [unrolled: 8-line block ×4, first 2 shown]
	v_add_f64 v[90:91], v[124:125], v[90:91]
	v_add_f64 v[92:93], v[122:123], v[92:93]
	;; [unrolled: 1-line block ×3, first 2 shown]
	v_mul_f64 v[170:171], v[174:175], s[26:27]
	v_fma_f64 v[30:31], v[100:101], s[18:19], -v[170:171]
	v_fma_f64 v[38:39], v[100:101], s[18:19], v[170:171]
	v_add_f64 v[30:31], v[30:31], v[172:173]
	v_mul_f64 v[172:173], v[176:177], s[8:9]
	v_mul_f64 v[176:177], v[178:179], s[20:21]
	v_add_f64 v[38:39], v[38:39], v[84:85]
	v_fma_f64 v[174:175], v[102:103], s[20:21], v[172:173]
	v_fma_f64 v[40:41], v[102:103], s[28:29], v[172:173]
	;; [unrolled: 1-line block ×3, first 2 shown]
	v_add_f64 v[28:29], v[174:175], v[28:29]
	v_fma_f64 v[174:175], v[104:105], s[8:9], -v[176:177]
	v_add_f64 v[36:37], v[40:41], v[36:37]
	v_add_f64 v[38:39], v[42:43], v[38:39]
	v_fma_f64 v[42:43], v[112:113], s[4:5], v[186:187]
	v_add_f64 v[30:31], v[174:175], v[30:31]
	v_mul_f64 v[174:175], v[180:181], s[0:1]
	v_mul_f64 v[180:181], v[182:183], s[36:37]
	v_fma_f64 v[178:179], v[106:107], s[36:37], v[174:175]
	v_fma_f64 v[44:45], v[106:107], s[12:13], v[174:175]
	;; [unrolled: 1-line block ×3, first 2 shown]
	v_add_f64 v[28:29], v[178:179], v[28:29]
	v_fma_f64 v[178:179], v[108:109], s[0:1], -v[180:181]
	v_add_f64 v[36:37], v[44:45], v[36:37]
	v_add_f64 v[38:39], v[46:47], v[38:39]
	;; [unrolled: 1-line block ×3, first 2 shown]
	v_mul_f64 v[178:179], v[184:185], s[4:5]
	v_mul_f64 v[184:185], v[192:193], s[38:39]
	v_fma_f64 v[182:183], v[110:111], s[34:35], v[178:179]
	v_fma_f64 v[40:41], v[110:111], s[14:15], v[178:179]
	;; [unrolled: 1-line block ×3, first 2 shown]
	v_add_f64 v[28:29], v[182:183], v[28:29]
	v_fma_f64 v[182:183], v[112:113], s[4:5], -v[186:187]
	v_add_f64 v[36:37], v[40:41], v[36:37]
	v_add_f64 v[40:41], v[42:43], v[38:39]
	;; [unrolled: 1-line block ×3, first 2 shown]
	v_mul_f64 v[182:183], v[190:191], s[6:7]
	v_fma_f64 v[190:191], v[98:99], s[34:35], v[194:195]
	v_fma_f64 v[30:31], v[114:115], s[38:39], v[182:183]
	v_add_f64 v[120:121], v[190:191], v[120:121]
	v_fma_f64 v[190:191], v[100:101], s[4:5], v[196:197]
	v_fma_f64 v[44:45], v[114:115], s[16:17], v[182:183]
	v_add_f64 v[30:31], v[30:31], v[28:29]
	v_fma_f64 v[28:29], v[116:117], s[6:7], -v[184:185]
	v_add_f64 v[118:119], v[190:191], v[118:119]
	v_fma_f64 v[190:191], v[102:103], s[24:25], v[198:199]
	v_add_f64 v[38:39], v[44:45], v[36:37]
	v_add_f64 v[36:37], v[46:47], v[40:41]
	;; [unrolled: 1-line block ×4, first 2 shown]
	v_fma_f64 v[190:191], v[104:105], s[22:23], v[200:201]
	v_add_f64 v[118:119], v[190:191], v[118:119]
	v_fma_f64 v[190:191], v[106:107], s[28:29], v[202:203]
	v_add_f64 v[120:121], v[190:191], v[120:121]
	;; [unrolled: 2-line block ×4, first 2 shown]
	v_add_f64 v[120:121], v[190:191], v[120:121]
	v_fma_f64 v[126:127], v[114:115], s[26:27], v[128:129]
	v_fma_f64 v[128:129], v[116:117], s[18:19], v[132:133]
	v_add_f64 v[120:121], v[126:127], v[120:121]
	v_add_f64 v[118:119], v[128:129], v[118:119]
	ds_write_b128 v55, v[28:31] offset:192
	ds_write_b128 v55, v[24:27] offset:384
	;; [unrolled: 1-line block ×11, first 2 shown]
	ds_write_b128 v189, v[32:35]
	ds_write_b128 v55, v[36:39] offset:2304
.LBB0_22:
	s_or_b32 exec_lo, exec_lo, s33
	s_waitcnt lgkmcnt(0)
	s_barrier
	buffer_gl0_inv
	s_and_saveexec_b32 s0, vcc_lo
	s_cbranch_execz .LBB0_24
; %bb.23:
	v_mul_lo_u32 v2, s3, v56
	v_mul_lo_u32 v3, s2, v57
	v_mad_u64_u32 v[0:1], null, s2, v56, 0
	v_lshl_add_u32 v30, v54, 4, v188
	v_mov_b32_e32 v55, 0
	v_lshlrev_b64 v[8:9], 4, v[52:53]
	v_add_nc_u32_e32 v10, 13, v54
	v_add_nc_u32_e32 v13, 26, v54
	;; [unrolled: 1-line block ×3, first 2 shown]
	v_add3_u32 v1, v1, v3, v2
	v_lshlrev_b64 v[14:15], 4, v[54:55]
	v_mov_b32_e32 v17, v55
	v_mov_b32_e32 v29, v55
	v_lshlrev_b64 v[11:12], 4, v[0:1]
	ds_read_b128 v[0:3], v30
	ds_read_b128 v[4:7], v30 offset:208
	v_add_co_u32 v16, vcc_lo, s10, v11
	v_add_co_ci_u32_e32 v12, vcc_lo, s11, v12, vcc_lo
	v_mov_b32_e32 v11, v55
	v_add_co_u32 v31, vcc_lo, v16, v8
	v_add_co_ci_u32_e32 v32, vcc_lo, v12, v9, vcc_lo
	v_lshlrev_b64 v[8:9], 4, v[10:11]
	v_add_co_u32 v10, vcc_lo, v31, v14
	v_add_co_ci_u32_e32 v11, vcc_lo, v32, v15, vcc_lo
	v_mov_b32_e32 v14, v55
	v_add_co_u32 v8, vcc_lo, v31, v8
	v_add_co_ci_u32_e32 v9, vcc_lo, v32, v9, vcc_lo
	v_add_nc_u32_e32 v15, 39, v54
	v_mov_b32_e32 v16, v55
	s_waitcnt lgkmcnt(1)
	global_store_dwordx4 v[10:11], v[0:3], off
	s_waitcnt lgkmcnt(0)
	global_store_dwordx4 v[8:9], v[4:7], off
	v_lshlrev_b64 v[12:13], 4, v[13:14]
	ds_read_b128 v[0:3], v30 offset:416
	ds_read_b128 v[4:7], v30 offset:624
	;; [unrolled: 1-line block ×3, first 2 shown]
	v_lshlrev_b64 v[14:15], 4, v[15:16]
	v_add_nc_u32_e32 v16, 52, v54
	v_add_co_u32 v20, vcc_lo, v31, v12
	v_add_co_ci_u32_e32 v21, vcc_lo, v32, v13, vcc_lo
	v_lshlrev_b64 v[12:13], 4, v[16:17]
	v_add_nc_u32_e32 v16, 0x41, v54
	v_add_co_u32 v22, vcc_lo, v31, v14
	v_add_co_ci_u32_e32 v23, vcc_lo, v32, v15, vcc_lo
	v_lshlrev_b64 v[26:27], 4, v[16:17]
	ds_read_b128 v[16:19], v30 offset:1248
	v_add_co_u32 v24, vcc_lo, v31, v12
	v_add_co_ci_u32_e32 v25, vcc_lo, v32, v13, vcc_lo
	ds_read_b128 v[12:15], v30 offset:1040
	s_waitcnt lgkmcnt(4)
	global_store_dwordx4 v[20:21], v[0:3], off
	s_waitcnt lgkmcnt(3)
	global_store_dwordx4 v[22:23], v[4:7], off
	;; [unrolled: 2-line block ×3, first 2 shown]
	v_lshlrev_b64 v[0:1], 4, v[28:29]
	v_add_co_u32 v2, vcc_lo, v31, v26
	v_add_co_ci_u32_e32 v3, vcc_lo, v32, v27, vcc_lo
	v_add_nc_u32_e32 v4, 0x5b, v54
	v_mov_b32_e32 v5, v55
	v_add_co_u32 v6, vcc_lo, v31, v0
	v_add_co_ci_u32_e32 v7, vcc_lo, v32, v1, vcc_lo
	v_add_nc_u32_e32 v8, 0x68, v54
	v_mov_b32_e32 v9, v55
	v_lshlrev_b64 v[4:5], 4, v[4:5]
	s_waitcnt lgkmcnt(1)
	global_store_dwordx4 v[6:7], v[16:19], off
	v_add_nc_u32_e32 v24, 0x82, v54
	v_mov_b32_e32 v25, v55
	v_lshlrev_b64 v[6:7], 4, v[8:9]
	s_waitcnt lgkmcnt(0)
	global_store_dwordx4 v[2:3], v[12:15], off
	v_add_co_u32 v20, vcc_lo, v31, v4
	v_add_nc_u32_e32 v12, 0x75, v54
	v_mov_b32_e32 v13, v55
	v_add_co_ci_u32_e32 v21, vcc_lo, v32, v5, vcc_lo
	v_add_co_u32 v22, vcc_lo, v31, v6
	ds_read_b128 v[0:3], v30 offset:1456
	v_add_co_ci_u32_e32 v23, vcc_lo, v32, v7, vcc_lo
	ds_read_b128 v[4:7], v30 offset:1664
	ds_read_b128 v[8:11], v30 offset:1872
	v_lshlrev_b64 v[26:27], 4, v[12:13]
	ds_read_b128 v[12:15], v30 offset:2080
	ds_read_b128 v[16:19], v30 offset:2288
	v_add_nc_u32_e32 v54, 0x8f, v54
	v_lshlrev_b64 v[24:25], 4, v[24:25]
	v_add_co_u32 v26, vcc_lo, v31, v26
	v_lshlrev_b64 v[28:29], 4, v[54:55]
	v_add_co_ci_u32_e32 v27, vcc_lo, v32, v27, vcc_lo
	v_add_co_u32 v24, vcc_lo, v31, v24
	v_add_co_ci_u32_e32 v25, vcc_lo, v32, v25, vcc_lo
	v_add_co_u32 v28, vcc_lo, v31, v28
	v_add_co_ci_u32_e32 v29, vcc_lo, v32, v29, vcc_lo
	s_waitcnt lgkmcnt(4)
	global_store_dwordx4 v[20:21], v[0:3], off
	s_waitcnt lgkmcnt(3)
	global_store_dwordx4 v[22:23], v[4:7], off
	;; [unrolled: 2-line block ×5, first 2 shown]
.LBB0_24:
	s_endpgm
	.section	.rodata,"a",@progbits
	.p2align	6, 0x0
	.amdhsa_kernel fft_rtc_fwd_len156_factors_3_4_13_wgs_117_tpt_13_dp_op_CI_CI_unitstride_sbrr_C2R_dirReg
		.amdhsa_group_segment_fixed_size 0
		.amdhsa_private_segment_fixed_size 0
		.amdhsa_kernarg_size 104
		.amdhsa_user_sgpr_count 6
		.amdhsa_user_sgpr_private_segment_buffer 1
		.amdhsa_user_sgpr_dispatch_ptr 0
		.amdhsa_user_sgpr_queue_ptr 0
		.amdhsa_user_sgpr_kernarg_segment_ptr 1
		.amdhsa_user_sgpr_dispatch_id 0
		.amdhsa_user_sgpr_flat_scratch_init 0
		.amdhsa_user_sgpr_private_segment_size 0
		.amdhsa_wavefront_size32 1
		.amdhsa_uses_dynamic_stack 0
		.amdhsa_system_sgpr_private_segment_wavefront_offset 0
		.amdhsa_system_sgpr_workgroup_id_x 1
		.amdhsa_system_sgpr_workgroup_id_y 0
		.amdhsa_system_sgpr_workgroup_id_z 0
		.amdhsa_system_sgpr_workgroup_info 0
		.amdhsa_system_vgpr_workitem_id 0
		.amdhsa_next_free_vgpr 210
		.amdhsa_next_free_sgpr 42
		.amdhsa_reserve_vcc 1
		.amdhsa_reserve_flat_scratch 0
		.amdhsa_float_round_mode_32 0
		.amdhsa_float_round_mode_16_64 0
		.amdhsa_float_denorm_mode_32 3
		.amdhsa_float_denorm_mode_16_64 3
		.amdhsa_dx10_clamp 1
		.amdhsa_ieee_mode 1
		.amdhsa_fp16_overflow 0
		.amdhsa_workgroup_processor_mode 1
		.amdhsa_memory_ordered 1
		.amdhsa_forward_progress 0
		.amdhsa_shared_vgpr_count 0
		.amdhsa_exception_fp_ieee_invalid_op 0
		.amdhsa_exception_fp_denorm_src 0
		.amdhsa_exception_fp_ieee_div_zero 0
		.amdhsa_exception_fp_ieee_overflow 0
		.amdhsa_exception_fp_ieee_underflow 0
		.amdhsa_exception_fp_ieee_inexact 0
		.amdhsa_exception_int_div_zero 0
	.end_amdhsa_kernel
	.text
.Lfunc_end0:
	.size	fft_rtc_fwd_len156_factors_3_4_13_wgs_117_tpt_13_dp_op_CI_CI_unitstride_sbrr_C2R_dirReg, .Lfunc_end0-fft_rtc_fwd_len156_factors_3_4_13_wgs_117_tpt_13_dp_op_CI_CI_unitstride_sbrr_C2R_dirReg
                                        ; -- End function
	.section	.AMDGPU.csdata,"",@progbits
; Kernel info:
; codeLenInByte = 9872
; NumSgprs: 44
; NumVgprs: 210
; ScratchSize: 0
; MemoryBound: 0
; FloatMode: 240
; IeeeMode: 1
; LDSByteSize: 0 bytes/workgroup (compile time only)
; SGPRBlocks: 5
; VGPRBlocks: 26
; NumSGPRsForWavesPerEU: 44
; NumVGPRsForWavesPerEU: 210
; Occupancy: 4
; WaveLimiterHint : 1
; COMPUTE_PGM_RSRC2:SCRATCH_EN: 0
; COMPUTE_PGM_RSRC2:USER_SGPR: 6
; COMPUTE_PGM_RSRC2:TRAP_HANDLER: 0
; COMPUTE_PGM_RSRC2:TGID_X_EN: 1
; COMPUTE_PGM_RSRC2:TGID_Y_EN: 0
; COMPUTE_PGM_RSRC2:TGID_Z_EN: 0
; COMPUTE_PGM_RSRC2:TIDIG_COMP_CNT: 0
	.text
	.p2alignl 6, 3214868480
	.fill 48, 4, 3214868480
	.type	__hip_cuid_6dc97f1bb459df87,@object ; @__hip_cuid_6dc97f1bb459df87
	.section	.bss,"aw",@nobits
	.globl	__hip_cuid_6dc97f1bb459df87
__hip_cuid_6dc97f1bb459df87:
	.byte	0                               ; 0x0
	.size	__hip_cuid_6dc97f1bb459df87, 1

	.ident	"AMD clang version 19.0.0git (https://github.com/RadeonOpenCompute/llvm-project roc-6.4.0 25133 c7fe45cf4b819c5991fe208aaa96edf142730f1d)"
	.section	".note.GNU-stack","",@progbits
	.addrsig
	.addrsig_sym __hip_cuid_6dc97f1bb459df87
	.amdgpu_metadata
---
amdhsa.kernels:
  - .args:
      - .actual_access:  read_only
        .address_space:  global
        .offset:         0
        .size:           8
        .value_kind:     global_buffer
      - .offset:         8
        .size:           8
        .value_kind:     by_value
      - .actual_access:  read_only
        .address_space:  global
        .offset:         16
        .size:           8
        .value_kind:     global_buffer
      - .actual_access:  read_only
        .address_space:  global
        .offset:         24
        .size:           8
        .value_kind:     global_buffer
      - .actual_access:  read_only
        .address_space:  global
        .offset:         32
        .size:           8
        .value_kind:     global_buffer
      - .offset:         40
        .size:           8
        .value_kind:     by_value
      - .actual_access:  read_only
        .address_space:  global
        .offset:         48
        .size:           8
        .value_kind:     global_buffer
      - .actual_access:  read_only
        .address_space:  global
        .offset:         56
        .size:           8
        .value_kind:     global_buffer
      - .offset:         64
        .size:           4
        .value_kind:     by_value
      - .actual_access:  read_only
        .address_space:  global
        .offset:         72
        .size:           8
        .value_kind:     global_buffer
      - .actual_access:  read_only
        .address_space:  global
        .offset:         80
        .size:           8
        .value_kind:     global_buffer
      - .actual_access:  read_only
        .address_space:  global
        .offset:         88
        .size:           8
        .value_kind:     global_buffer
      - .actual_access:  write_only
        .address_space:  global
        .offset:         96
        .size:           8
        .value_kind:     global_buffer
    .group_segment_fixed_size: 0
    .kernarg_segment_align: 8
    .kernarg_segment_size: 104
    .language:       OpenCL C
    .language_version:
      - 2
      - 0
    .max_flat_workgroup_size: 117
    .name:           fft_rtc_fwd_len156_factors_3_4_13_wgs_117_tpt_13_dp_op_CI_CI_unitstride_sbrr_C2R_dirReg
    .private_segment_fixed_size: 0
    .sgpr_count:     44
    .sgpr_spill_count: 0
    .symbol:         fft_rtc_fwd_len156_factors_3_4_13_wgs_117_tpt_13_dp_op_CI_CI_unitstride_sbrr_C2R_dirReg.kd
    .uniform_work_group_size: 1
    .uses_dynamic_stack: false
    .vgpr_count:     210
    .vgpr_spill_count: 0
    .wavefront_size: 32
    .workgroup_processor_mode: 1
amdhsa.target:   amdgcn-amd-amdhsa--gfx1030
amdhsa.version:
  - 1
  - 2
...

	.end_amdgpu_metadata
